;; amdgpu-corpus repo=ROCm/rocm-examples kind=compiled arch=gfx1100 opt=O3
	.text
	.amdgcn_target "amdgcn-amd-amdhsa--gfx1100"
	.amdhsa_code_object_version 6
	.protected	_Z14gemm_rocwmma_djjjPKDF16_S0_S0_PDF16_jjjjff ; -- Begin function _Z14gemm_rocwmma_djjjPKDF16_S0_S0_PDF16_jjjjff
	.globl	_Z14gemm_rocwmma_djjjPKDF16_S0_S0_PDF16_jjjjff
	.p2align	8
	.type	_Z14gemm_rocwmma_djjjPKDF16_S0_S0_PDF16_jjjjff,@function
_Z14gemm_rocwmma_djjjPKDF16_S0_S0_PDF16_jjjjff: ; @_Z14gemm_rocwmma_djjjPKDF16_S0_S0_PDF16_jjjjff
; %bb.0:
	v_and_b32_e32 v1, 0x3ff, v0
	s_load_b128 s[16:19], s[0:1], 0x0
	v_bfe_u32 v0, v0, 10, 10
	s_lshl_b32 s22, s14, 7
	s_lshl_b32 s20, s15, 6
	v_lshlrev_b32_e32 v90, 1, v1
	s_delay_alu instid0(VALU_DEP_2) | instskip(NEXT) | instid1(VALU_DEP_2)
	v_lshlrev_b32_e32 v75, 5, v0
	v_and_b32_e32 v76, 0x1c0, v90
	s_delay_alu instid0(VALU_DEP_2) | instskip(NEXT) | instid1(VALU_DEP_2)
	v_add_nc_u32_e32 v64, s20, v75
	v_add_nc_u32_e32 v74, s22, v76
	s_delay_alu instid0(VALU_DEP_2) | instskip(NEXT) | instid1(VALU_DEP_2)
	v_add_nc_u32_e32 v3, 32, v64
	v_add_nc_u32_e32 v2, 64, v74
	s_waitcnt lgkmcnt(0)
	s_delay_alu instid0(VALU_DEP_2) | instskip(NEXT) | instid1(VALU_DEP_2)
	v_cmp_ge_u32_e64 s2, s17, v3
	v_cmp_ge_u32_e32 vcc_lo, s16, v2
	s_delay_alu instid0(VALU_DEP_2) | instskip(NEXT) | instid1(SALU_CYCLE_1)
	s_and_b32 s2, vcc_lo, s2
	s_and_saveexec_b32 s3, s2
	s_cbranch_execz .LBB0_9
; %bb.1:
	v_lshrrev_b32_e32 v2, 4, v1
	s_clause 0x1
	s_load_b128 s[12:15], s[0:1], 0x30
	s_load_b256 s[4:11], s[0:1], 0x10
	v_lshrrev_b32_e32 v3, 3, v1
	v_lshlrev_b32_e32 v4, 3, v1
	v_lshlrev_b32_e32 v5, 2, v1
	v_and_b32_e32 v2, 62, v2
	s_mov_b32 s23, 0
	v_and_b32_e32 v3, 2, v3
	s_load_b64 s[2:3], s[0:1], 0x40
	v_and_b32_e32 v73, 60, v5
	v_add_nc_u32_e32 v2, v2, v0
	v_and_b32_e32 v0, 0x78, v4
	s_lshl_b64 s[0:1], s[22:23], 1
	s_mov_b32 s21, s23
	v_and_b32_e32 v98, 30, v90
	v_lshl_or_b32 v14, v2, 2, v3
	v_lshrrev_b32_e32 v105, 1, v1
	v_or_b32_e32 v96, 0x240, v73
	v_or_b32_e32 v97, 0x300, v73
	;; [unrolled: 1-line block ×3, first 2 shown]
	s_waitcnt lgkmcnt(0)
	v_mad_u64_u32 v[2:3], null, v14, s12, v[0:1]
	v_mov_b32_e32 v3, 0
	v_mad_u64_u32 v[4:5], null, v14, s13, v[73:74]
	s_add_u32 s16, s4, s0
	s_addc_u32 s17, s5, s1
	s_delay_alu instid0(VALU_DEP_2) | instskip(NEXT) | instid1(VALU_DEP_4)
	v_mov_b32_e32 v5, v3
	v_lshlrev_b64 v[65:66], 1, v[2:3]
	v_add_nc_u32_e32 v2, s12, v2
	s_lshl_b64 s[0:1], s[20:21], 1
	v_mul_u32_u24_e32 v14, 0xc0, v14
	v_lshlrev_b64 v[67:68], 1, v[4:5]
	s_add_u32 s0, s6, s0
	v_lshlrev_b64 v[69:70], 1, v[2:3]
	v_add_nc_u32_e32 v2, s13, v4
	v_add_co_u32 v4, vcc_lo, s16, v65
	v_add_co_ci_u32_e32 v5, vcc_lo, s17, v66, vcc_lo
	s_delay_alu instid0(VALU_DEP_4) | instskip(NEXT) | instid1(VALU_DEP_4)
	v_add_co_u32 v6, vcc_lo, s16, v69
	v_lshlrev_b64 v[71:72], 1, v[2:3]
	v_add_co_ci_u32_e32 v7, vcc_lo, s17, v70, vcc_lo
	s_addc_u32 s1, s7, s1
	v_add_co_u32 v10, vcc_lo, s0, v67
	v_add_co_ci_u32_e32 v11, vcc_lo, s1, v68, vcc_lo
	s_delay_alu instid0(VALU_DEP_4)
	v_add_co_u32 v12, vcc_lo, s0, v71
	v_add_co_ci_u32_e32 v13, vcc_lo, s1, v72, vcc_lo
	s_clause 0x1
	global_load_b128 v[2:5], v[4:5], off
	global_load_b128 v[6:9], v[6:7], off
	s_clause 0x1
	global_load_b64 v[10:11], v[10:11], off
	global_load_b64 v[12:13], v[12:13], off
	v_or_b32_e32 v102, v14, v73
	v_or_b32_e32 v103, v14, v0
	;; [unrolled: 1-line block ×4, first 2 shown]
	s_cmp_gt_u32 s18, 16
	v_lshlrev_b32_e32 v104, 1, v102
	v_lshl_add_u32 v0, v103, 1, 0
	s_delay_alu instid0(VALU_DEP_2)
	v_add_nc_u32_e32 v1, 0, v104
	v_add3_u32 v14, 0, 0x100, v104
	s_waitcnt vmcnt(3)
	ds_store_b128 v0, v[2:5]
	s_waitcnt vmcnt(2)
	ds_store_b128 v0, v[6:9] offset:384
	s_waitcnt vmcnt(1)
	ds_store_b64 v1, v[10:11] offset:256
	s_waitcnt vmcnt(0)
	ds_store_b64 v14, v[12:13] offset:384
	s_waitcnt lgkmcnt(0)
	s_barrier
	buffer_gl0_inv
	s_cbranch_scc1 .LBB0_3
; %bb.2:
	v_and_b32_e32 v0, 8, v105
	v_and_b32_e32 v77, 30, v90
	v_or_b32_e32 v91, 0x240, v73
	v_or_b32_e32 v92, 0x300, v73
	v_or_b32_e32 v93, 0x3c0, v73
	v_mul_u32_u24_e32 v78, 0xc0, v0
	v_or_b32_e32 v94, 0x480, v73
	v_or_b32_e32 v95, 0x540, v73
	;; [unrolled: 1-line block ×13, first 2 shown]
	s_mov_b32 s0, 0
	s_mov_b32 s1, 0
	s_branch .LBB0_4
.LBB0_3:
	s_mov_b32 s23, -1
                                        ; implicit-def: $sgpr1
                                        ; implicit-def: $sgpr0
                                        ; implicit-def: $vgpr77
                                        ; implicit-def: $vgpr78
                                        ; implicit-def: $vgpr79
                                        ; implicit-def: $vgpr81
                                        ; implicit-def: $vgpr82
                                        ; implicit-def: $vgpr91
                                        ; implicit-def: $vgpr92
                                        ; implicit-def: $vgpr93
                                        ; implicit-def: $vgpr94
                                        ; implicit-def: $vgpr95
                                        ; implicit-def: $vgpr80
                                        ; implicit-def: $vgpr83
                                        ; implicit-def: $vgpr84
                                        ; implicit-def: $vgpr85
                                        ; implicit-def: $vgpr86
                                        ; implicit-def: $vgpr87
                                        ; implicit-def: $vgpr88
                                        ; implicit-def: $vgpr89
.LBB0_4:
	v_dual_mov_b32 v7, s1 :: v_dual_mov_b32 v6, s1
	v_dual_mov_b32 v5, s1 :: v_dual_mov_b32 v4, s1
	;; [unrolled: 1-line block ×32, first 2 shown]
	s_and_not1_b32 vcc_lo, exec_lo, s23
	s_cbranch_vccnz .LBB0_8
; %bb.5:
	v_mov_b32_e32 v56, 0
	v_and_b32_e32 v0, 8, v105
	v_or_b32_e32 v85, 0x240, v98
	v_or_b32_e32 v86, 0x300, v98
	;; [unrolled: 1-line block ×3, first 2 shown]
	v_mov_b32_e32 v57, v56
	v_mul_u32_u24_e32 v78, 0xc0, v0
	v_or_b32_e32 v88, 0x480, v98
	v_or_b32_e32 v89, 0x540, v98
	s_lshl_b32 s1, s12, 4
	s_lshl_b32 s19, s13, 4
	v_or_b32_e32 v79, v78, v73
	v_or_b32_e32 v80, v78, v98
	v_lshlrev_b32_e32 v73, 1, v73
	v_dual_mov_b32 v58, v56 :: v_dual_lshlrev_b32 v77, 1, v78
	s_delay_alu instid0(VALU_DEP_4)
	v_or_b32_e32 v81, 0xc0, v79
	v_or_b32_e32 v82, 0x180, v79
	;; [unrolled: 1-line block ×4, first 2 shown]
	v_dual_mov_b32 v60, v56 :: v_dual_lshlrev_b32 v91, 1, v80
	v_dual_mov_b32 v59, v56 :: v_dual_lshlrev_b32 v92, 1, v98
	v_mov_b32_e32 v61, v56
	v_mov_b32_e32 v62, v56
	;; [unrolled: 1-line block ×59, first 2 shown]
	s_mov_b32 s13, 0
	s_add_i32 s12, s22, s1
	s_add_i32 s21, 0, 0x1800
	s_add_i32 s16, s20, s19
	s_mov_b32 s20, 16
	s_mov_b32 s22, s13
.LBB0_6:                                ; =>This Inner Loop Header: Depth=1
	s_lshl_b64 s[24:25], s[12:13], 1
	s_mov_b32 s17, s13
	s_add_u32 s0, s4, s24
	s_addc_u32 s23, s5, s25
	s_lshl_b64 s[24:25], s[16:17], 1
	v_add_co_u32 v93, vcc_lo, s0, v69
	v_add_co_u32 v105, s0, s0, v65
	s_add_u32 s17, s6, s24
	v_add_co_ci_u32_e64 v106, s0, s23, v66, s0
	v_add_co_ci_u32_e32 v94, vcc_lo, s23, v70, vcc_lo
	s_addc_u32 s23, s7, s25
	v_add_co_u32 v109, s0, s17, v67
	v_add_co_u32 v107, vcc_lo, s17, v71
	v_add_co_ci_u32_e64 v110, s0, s23, v68, s0
	v_add_co_ci_u32_e32 v108, vcc_lo, s23, v72, vcc_lo
	s_clause 0x1
	global_load_b128 v[153:156], v[105:106], off
	global_load_b128 v[157:160], v[93:94], off
	s_clause 0x1
	global_load_b64 v[93:94], v[109:110], off
	global_load_b64 v[161:162], v[107:108], off
	s_mov_b32 s0, s21
	s_mov_b32 s21, s22
	s_add_i32 s20, s20, 16
	v_lshl_add_u32 v95, v76, 1, s21
	v_lshl_add_u32 v105, v75, 1, s21
	;; [unrolled: 1-line block ×3, first 2 shown]
	s_add_i32 s12, s12, s1
	s_add_i32 s16, s16, s19
	v_lshl_add_u32 v106, v79, 1, v95
	v_add_nc_u32_e32 v113, 0x100, v105
	v_add3_u32 v95, v95, v73, v77
	ds_load_2addr_b64 v[107:110], v106 offset1:48
	ds_load_2addr_b64 v[116:119], v95 offset0:144 offset1:192
	ds_load_b64 v[111:112], v106 offset:768
	v_add_nc_u32_e32 v106, v113, v91
	v_add3_u32 v113, v113, v92, v77
	v_add_nc_u32_e32 v105, v105, v91
	v_add_nc_u32_e32 v114, 0x400, v95
	ds_load_b64 v[127:128], v95 offset:2688
	ds_load_b32 v95, v105 offset:256
	ds_load_2addr_b32 v[134:135], v106 offset0:96 offset1:192
	ds_load_2addr_b64 v[123:126], v114 offset0:112 offset1:160
	v_add_nc_u32_e32 v105, 0x400, v113
	v_add_nc_u32_e32 v106, 0x600, v113
	ds_load_b32 v120, v113 offset:2688
	ds_load_2addr_b32 v[139:140], v105 offset0:32 offset1:128
	ds_load_2addr_b32 v[141:142], v106 offset0:96 offset1:192
	v_add3_u32 v164, 0x100, s0, v104
	s_mov_b32 s22, s0
	s_cmp_ge_u32 s20, s18
	s_waitcnt lgkmcnt(9)
	v_perm_b32 v105, v109, v107, 0x5040100
	v_perm_b32 v113, v109, v107, 0x7060302
	s_waitcnt lgkmcnt(7)
	v_perm_b32 v106, v116, v111, 0x5040100
	v_perm_b32 v114, v116, v111, 0x7060302
	;; [unrolled: 1-line block ×6, first 2 shown]
	s_waitcnt lgkmcnt(4)
	v_perm_b32 v137, v134, v95, 0x7060302
	v_perm_b32 v145, v134, v95, 0x5040100
	s_waitcnt lgkmcnt(3)
	v_perm_b32 v107, v123, v118, 0x5040100
	v_perm_b32 v108, v127, v125, 0x5040100
	v_perm_b32 v115, v123, v118, 0x7060302
	v_perm_b32 v116, v127, v125, 0x7060302
	v_perm_b32 v123, v124, v119, 0x7060302
	v_perm_b32 v131, v124, v119, 0x5040100
	v_perm_b32 v124, v128, v126, 0x7060302
	v_perm_b32 v132, v128, v126, 0x5040100
	s_waitcnt lgkmcnt(1)
	v_perm_b32 v138, v139, v135, 0x7060302
	v_perm_b32 v146, v139, v135, 0x5040100
	s_waitcnt lgkmcnt(0)
	v_perm_b32 v139, v141, v140, 0x7060302
	v_perm_b32 v147, v141, v140, 0x5040100
	;; [unrolled: 1-line block ×4, first 2 shown]
	ds_swizzle_b32 v109, v105 offset:swizzle(SWAP,16)
	ds_swizzle_b32 v110, v106 offset:swizzle(SWAP,16)
	;; [unrolled: 1-line block ×24, first 2 shown]
	v_lshl_add_u32 v95, v103, 1, s0
	s_waitcnt vmcnt(3)
	ds_store_b128 v95, v[153:156]
	s_waitcnt vmcnt(2)
	ds_store_b128 v95, v[157:160] offset:384
	s_waitcnt vmcnt(1)
	ds_store_b64 v163, v[93:94] offset:256
	s_waitcnt vmcnt(0)
	ds_store_b64 v164, v[161:162] offset:384
	s_waitcnt lgkmcnt(7)
	v_wmma_f32_16x16x16_f16 v[56:63], v[105:112], v[145:152], v[56:63]
	s_waitcnt lgkmcnt(4)
	v_wmma_f32_16x16x16_f16 v[48:55], v[105:112], v[137:144], v[48:55]
	v_wmma_f32_16x16x16_f16 v[40:47], v[113:120], v[145:152], v[40:47]
	;; [unrolled: 1-line block ×7, first 2 shown]
	s_waitcnt lgkmcnt(0)
	s_barrier
	buffer_gl0_inv
	s_cbranch_scc0 .LBB0_6
; %bb.7:
	v_dual_mov_b32 v77, v98 :: v_dual_mov_b32 v92, v97
	v_mov_b32_e32 v91, v96
	v_dual_mov_b32 v93, v99 :: v_dual_mov_b32 v94, v100
	v_mov_b32_e32 v95, v101
.LBB0_8:
	v_and_b32_e32 v67, 32, v90
	v_mad_u64_u32 v[65:66], null, v74, s14, v[64:65]
	v_mov_b32_e32 v66, 0
	v_lshl_add_u32 v75, v75, 1, s0
	s_delay_alu instid0(VALU_DEP_4)
	v_mul_lo_u32 v72, v67, s14
	v_lshlrev_b32_e32 v86, 1, v86
	v_lshlrev_b32_e32 v87, 1, v87
	v_lshlrev_b64 v[68:69], 1, v[65:66]
	v_lshl_add_u32 v83, v83, 1, v75
	v_lshl_add_u32 v84, v84, 1, v75
	;; [unrolled: 1-line block ×3, first 2 shown]
	v_or_b32_e32 v65, v72, v77
	v_add_co_u32 v90, vcc_lo, s8, v68
	v_add_co_ci_u32_e32 v120, vcc_lo, s9, v69, vcc_lo
	s_delay_alu instid0(VALU_DEP_3) | instskip(SKIP_1) | instid1(VALU_DEP_1)
	v_lshlrev_b64 v[70:71], 1, v[65:66]
	v_add3_u32 v65, v72, s14, v77
	v_lshlrev_b64 v[72:73], 1, v[65:66]
	v_add_nc_u32_e32 v65, s14, v65
	s_delay_alu instid0(VALU_DEP_4) | instskip(SKIP_1) | instid1(VALU_DEP_3)
	v_add_co_u32 v70, vcc_lo, v90, v70
	v_add_co_ci_u32_e32 v71, vcc_lo, v120, v71, vcc_lo
	v_lshlrev_b64 v[96:97], 1, v[65:66]
	v_add_nc_u32_e32 v65, s14, v65
	v_add_co_u32 v72, vcc_lo, v90, v72
	v_add_co_ci_u32_e32 v73, vcc_lo, v120, v73, vcc_lo
	s_delay_alu instid0(VALU_DEP_3) | instskip(SKIP_3) | instid1(VALU_DEP_3)
	v_lshlrev_b64 v[98:99], 1, v[65:66]
	v_add_nc_u32_e32 v65, s14, v65
	v_add_co_u32 v96, vcc_lo, v90, v96
	v_add_co_ci_u32_e32 v97, vcc_lo, v120, v97, vcc_lo
	v_lshlrev_b64 v[100:101], 1, v[65:66]
	v_add_nc_u32_e32 v65, s14, v65
	v_add_co_u32 v98, vcc_lo, v90, v98
	v_add_co_ci_u32_e32 v99, vcc_lo, v120, v99, vcc_lo
	s_delay_alu instid0(VALU_DEP_3) | instskip(SKIP_3) | instid1(VALU_DEP_3)
	v_lshlrev_b64 v[102:103], 1, v[65:66]
	v_add_nc_u32_e32 v65, s14, v65
	v_add_co_u32 v100, vcc_lo, v90, v100
	v_add_co_ci_u32_e32 v101, vcc_lo, v120, v101, vcc_lo
	v_lshlrev_b64 v[104:105], 1, v[65:66]
	v_add_nc_u32_e32 v65, s14, v65
	v_add_co_u32 v102, vcc_lo, v90, v102
	v_add_co_ci_u32_e32 v103, vcc_lo, v120, v103, vcc_lo
	s_delay_alu instid0(VALU_DEP_3)
	v_lshlrev_b64 v[68:69], 1, v[65:66]
	v_add_nc_u32_e32 v65, s14, v65
	s_clause 0x5
	global_load_b32 v127, v[70:71], off
	global_load_b32 v128, v[72:73], off
	;; [unrolled: 1-line block ×6, first 2 shown]
	v_add_co_u32 v104, vcc_lo, v90, v104
	v_add_co_ci_u32_e32 v105, vcc_lo, v120, v105, vcc_lo
	v_lshlrev_b64 v[106:107], 1, v[65:66]
	v_add_nc_u32_e32 v65, s14, v65
	s_delay_alu instid0(VALU_DEP_1) | instskip(SKIP_1) | instid1(VALU_DEP_4)
	v_lshlrev_b64 v[108:109], 1, v[65:66]
	v_add_nc_u32_e32 v65, s14, v65
	v_add_co_u32 v72, vcc_lo, v90, v106
	v_add_co_ci_u32_e32 v73, vcc_lo, v120, v107, vcc_lo
	s_delay_alu instid0(VALU_DEP_3) | instskip(SKIP_3) | instid1(VALU_DEP_3)
	v_lshlrev_b64 v[110:111], 1, v[65:66]
	v_add_nc_u32_e32 v65, s14, v65
	v_add_co_u32 v98, vcc_lo, v90, v108
	v_add_co_ci_u32_e32 v99, vcc_lo, v120, v109, vcc_lo
	v_lshlrev_b64 v[112:113], 1, v[65:66]
	v_add_nc_u32_e32 v65, s14, v65
	v_add_co_u32 v102, vcc_lo, v90, v110
	v_add_co_ci_u32_e32 v103, vcc_lo, v120, v111, vcc_lo
	s_delay_alu instid0(VALU_DEP_3)
	v_lshlrev_b64 v[114:115], 1, v[65:66]
	v_add_nc_u32_e32 v65, s14, v65
	s_clause 0x2
	global_load_b32 v133, v[72:73], off
	global_load_b32 v134, v[98:99], off
	;; [unrolled: 1-line block ×3, first 2 shown]
	v_add_co_u32 v108, vcc_lo, v90, v112
	v_add_co_ci_u32_e32 v109, vcc_lo, v120, v113, vcc_lo
	v_lshlrev_b64 v[116:117], 1, v[65:66]
	v_add_nc_u32_e32 v65, s14, v65
	v_add_co_u32 v98, vcc_lo, v90, v114
	v_add_co_ci_u32_e32 v99, vcc_lo, v120, v115, vcc_lo
	s_delay_alu instid0(VALU_DEP_3) | instskip(SKIP_3) | instid1(VALU_DEP_3)
	v_lshlrev_b64 v[118:119], 1, v[65:66]
	v_add_nc_u32_e32 v65, s14, v65
	v_add_co_u32 v110, vcc_lo, v90, v116
	v_add_co_ci_u32_e32 v111, vcc_lo, v120, v117, vcc_lo
	v_lshlrev_b64 v[70:71], 1, v[65:66]
	v_add_nc_u32_e32 v65, s14, v65
	s_clause 0x1
	global_load_b32 v136, v[108:109], off
	global_load_b32 v137, v[98:99], off
	v_add_co_u32 v108, vcc_lo, v90, v118
	global_load_b32 v138, v[110:111], off
	v_lshlrev_b64 v[96:97], 1, v[65:66]
	v_add_nc_u32_e32 v65, s14, v65
	v_add_co_ci_u32_e32 v109, vcc_lo, v120, v119, vcc_lo
	s_clause 0x1
	global_load_b32 v139, v[104:105], off
	global_load_b32 v140, v[108:109], off
	v_lshlrev_b64 v[100:101], 1, v[65:66]
	v_add_nc_u32_e32 v65, s14, v65
	v_add_co_u32 v68, vcc_lo, v90, v68
	v_add_co_ci_u32_e32 v69, vcc_lo, v120, v69, vcc_lo
	s_delay_alu instid0(VALU_DEP_3) | instskip(SKIP_3) | instid1(VALU_DEP_3)
	v_lshlrev_b64 v[106:107], 1, v[65:66]
	v_add_nc_u32_e32 v65, s14, v65
	v_add_co_u32 v70, vcc_lo, v90, v70
	v_add_co_ci_u32_e32 v71, vcc_lo, v120, v71, vcc_lo
	v_lshlrev_b64 v[72:73], 1, v[65:66]
	v_add_nc_u32_e32 v65, s14, v65
	s_clause 0x1
	global_load_b32 v141, v[68:69], off
	global_load_b32 v142, v[70:71], off
	v_add_co_u32 v70, vcc_lo, v90, v96
	v_add_co_ci_u32_e32 v71, vcc_lo, v120, v97, vcc_lo
	v_lshlrev_b64 v[102:103], 1, v[65:66]
	v_add_nc_u32_e32 v65, s14, v65
	v_add_co_u32 v100, vcc_lo, v90, v100
	v_add_co_ci_u32_e32 v101, vcc_lo, v120, v101, vcc_lo
	s_delay_alu instid0(VALU_DEP_3) | instskip(SKIP_3) | instid1(VALU_DEP_3)
	v_lshlrev_b64 v[98:99], 1, v[65:66]
	v_add_nc_u32_e32 v65, s14, v65
	v_add_co_u32 v102, vcc_lo, v90, v102
	v_add_co_ci_u32_e32 v103, vcc_lo, v120, v103, vcc_lo
	v_lshlrev_b64 v[110:111], 1, v[65:66]
	v_add_nc_u32_e32 v65, s14, v65
	s_delay_alu instid0(VALU_DEP_1) | instskip(SKIP_1) | instid1(VALU_DEP_1)
	v_lshlrev_b64 v[104:105], 1, v[65:66]
	v_add_nc_u32_e32 v65, s14, v65
	v_lshlrev_b64 v[108:109], 1, v[65:66]
	v_add_nc_u32_e32 v65, s14, v65
	s_delay_alu instid0(VALU_DEP_1) | instskip(SKIP_1) | instid1(VALU_DEP_4)
	v_lshlrev_b64 v[68:69], 1, v[65:66]
	v_add_nc_u32_e32 v65, s14, v65
	v_add_co_u32 v108, vcc_lo, v90, v108
	v_add_co_ci_u32_e32 v109, vcc_lo, v120, v109, vcc_lo
	s_delay_alu instid0(VALU_DEP_3) | instskip(SKIP_1) | instid1(VALU_DEP_1)
	v_lshlrev_b64 v[96:97], 1, v[65:66]
	v_add_nc_u32_e32 v65, s14, v65
	v_lshlrev_b64 v[112:113], 1, v[65:66]
	v_add_nc_u32_e32 v65, s14, v65
	s_delay_alu instid0(VALU_DEP_1) | instskip(SKIP_1) | instid1(VALU_DEP_2)
	v_lshlrev_b64 v[114:115], 1, v[65:66]
	v_add_nc_u32_e32 v65, s14, v65
	v_add_co_u32 v114, vcc_lo, v90, v114
	s_delay_alu instid0(VALU_DEP_3)
	v_add_co_ci_u32_e32 v115, vcc_lo, v120, v115, vcc_lo
	v_add_co_u32 v106, vcc_lo, v90, v106
	v_add_co_ci_u32_e32 v107, vcc_lo, v120, v107, vcc_lo
	v_add_co_u32 v68, vcc_lo, v90, v68
	;; [unrolled: 2-line block ×4, first 2 shown]
	v_add_co_ci_u32_e32 v97, vcc_lo, v120, v97, vcc_lo
	s_clause 0x5
	global_load_b32 v143, v[108:109], off
	global_load_b32 v144, v[68:69], off
	;; [unrolled: 1-line block ×6, first 2 shown]
	v_add_co_u32 v112, vcc_lo, v90, v112
	v_add_co_ci_u32_e32 v113, vcc_lo, v120, v113, vcc_lo
	v_add_co_u32 v68, vcc_lo, v90, v98
	v_lshlrev_b64 v[70:71], 1, v[65:66]
	v_add_nc_u32_e32 v65, s14, v65
	v_add_co_ci_u32_e32 v69, vcc_lo, v120, v99, vcc_lo
	v_add_co_u32 v96, vcc_lo, v90, v110
	v_add_co_ci_u32_e32 v97, vcc_lo, v120, v111, vcc_lo
	v_add_co_u32 v70, vcc_lo, v90, v70
	v_lshlrev_b64 v[98:99], 1, v[65:66]
	v_add_co_ci_u32_e32 v71, vcc_lo, v120, v71, vcc_lo
	v_add_nc_u32_e32 v65, s14, v65
	s_clause 0x3
	global_load_b32 v149, v[102:103], off
	global_load_b32 v150, v[68:69], off
	;; [unrolled: 1-line block ×4, first 2 shown]
	v_add_co_u32 v68, vcc_lo, v90, v98
	v_lshlrev_b64 v[70:71], 1, v[65:66]
	v_add_co_ci_u32_e32 v69, vcc_lo, v120, v99, vcc_lo
	v_add_co_u32 v98, vcc_lo, v90, v104
	v_add_co_ci_u32_e32 v99, vcc_lo, v120, v105, vcc_lo
	global_load_b32 v65, v[68:69], off
	v_add_co_u32 v68, vcc_lo, v90, v70
	v_add_co_ci_u32_e32 v69, vcc_lo, v120, v71, vcc_lo
	s_clause 0x4
	global_load_b32 v153, v[96:97], off
	global_load_b32 v154, v[98:99], off
	;; [unrolled: 1-line block ×5, first 2 shown]
	v_lshl_add_u32 v68, v76, 1, s0
	v_lshlrev_b32_e32 v69, 1, v91
	v_lshlrev_b32_e32 v70, 1, v78
	;; [unrolled: 1-line block ×9, first 2 shown]
	v_lshl_add_u32 v79, v79, 1, v68
	v_lshl_add_u32 v81, v81, 1, v68
	;; [unrolled: 1-line block ×3, first 2 shown]
	v_add3_u32 v89, v68, v69, v70
	v_add3_u32 v90, v68, v71, v70
	;; [unrolled: 1-line block ×10, first 2 shown]
	ds_load_b64 v[68:69], v79
	ds_load_b64 v[70:71], v81
	;; [unrolled: 1-line block ×8, first 2 shown]
	ds_load_b32 v82, v85 offset:256
	ds_load_b32 v85, v88 offset:256
	;; [unrolled: 1-line block ×8, first 2 shown]
	s_waitcnt lgkmcnt(14)
	v_perm_b32 v78, v70, v68, 0x5040100
	v_perm_b32 v102, v70, v68, 0x7060302
	s_waitcnt lgkmcnt(12)
	v_perm_b32 v79, v75, v72, 0x5040100
	v_perm_b32 v103, v75, v72, 0x7060302
	;; [unrolled: 3-line block ×5, first 2 shown]
	ds_swizzle_b32 v82, v78 offset:swizzle(SWAP,16)
	s_waitcnt lgkmcnt(4)
	v_perm_b32 v87, v88, v84, 0x7060302
	v_perm_b32 v95, v88, v84, 0x5040100
	s_waitcnt lgkmcnt(2)
	v_perm_b32 v88, v91, v86, 0x7060302
	s_waitcnt lgkmcnt(1)
	v_perm_b32 v94, v83, v90, 0x5040100
	v_perm_b32 v96, v91, v86, 0x5040100
	;; [unrolled: 1-line block ×3, first 2 shown]
	ds_swizzle_b32 v83, v79 offset:swizzle(SWAP,16)
	ds_swizzle_b32 v84, v80 offset:swizzle(SWAP,16)
	;; [unrolled: 1-line block ×11, first 2 shown]
	v_perm_b32 v110, v71, v69, 0x5040100
	v_perm_b32 v111, v76, v73, 0x5040100
	;; [unrolled: 1-line block ×8, first 2 shown]
	ds_swizzle_b32 v106, v102 offset:swizzle(SWAP,16)
	ds_swizzle_b32 v107, v103 offset:swizzle(SWAP,16)
	;; [unrolled: 1-line block ×12, first 2 shown]
	s_waitcnt lgkmcnt(16)
	v_wmma_f32_16x16x16_f16 v[56:63], v[78:85], v[94:101], v[56:63]
	s_waitcnt lgkmcnt(12)
	v_wmma_f32_16x16x16_f16 v[48:55], v[78:85], v[86:93], v[48:55]
	;; [unrolled: 2-line block ×3, first 2 shown]
	v_wmma_f32_16x16x16_f16 v[40:47], v[102:109], v[94:101], v[40:47]
	s_waitcnt lgkmcnt(4)
	v_wmma_f32_16x16x16_f16 v[16:23], v[110:117], v[86:93], v[16:23]
	v_wmma_f32_16x16x16_f16 v[24:31], v[110:117], v[94:101], v[24:31]
	s_waitcnt lgkmcnt(0)
	v_wmma_f32_16x16x16_f16 v[0:7], v[118:125], v[86:93], v[0:7]
	v_wmma_f32_16x16x16_f16 v[8:15], v[118:125], v[94:101], v[8:15]
	s_waitcnt vmcnt(25)
	v_perm_b32 v68, v133, v127, 0x5040100
	v_perm_b32 v69, v133, v127, 0x7060302
	s_waitcnt vmcnt(24)
	v_perm_b32 v70, v134, v128, 0x5040100
	v_perm_b32 v72, v134, v128, 0x7060302
	s_waitcnt vmcnt(23)
	v_perm_b32 v76, v135, v129, 0x5040100
	ds_swizzle_b32 v71, v68 offset:50688
	ds_swizzle_b32 v73, v69 offset:50688
	;; [unrolled: 1-line block ×4, first 2 shown]
	v_perm_b32 v79, v135, v129, 0x7060302
	ds_swizzle_b32 v80, v76 offset:50688
	ds_swizzle_b32 v84, v79 offset:50688
	s_waitcnt vmcnt(22)
	v_perm_b32 v81, v136, v130, 0x5040100
	s_waitcnt vmcnt(21)
	v_perm_b32 v83, v137, v131, 0x5040100
	v_perm_b32 v85, v137, v131, 0x7060302
	;; [unrolled: 1-line block ×3, first 2 shown]
	s_waitcnt vmcnt(20)
	v_perm_b32 v89, v138, v132, 0x5040100
	ds_swizzle_b32 v86, v81 offset:50688
	ds_swizzle_b32 v88, v83 offset:50688
	s_waitcnt lgkmcnt(7)
	v_mov_b32_dpp v83, v71 quad_perm:[0,1,2,3] row_mask:0x5 bank_mask:0xf
	v_perm_b32 v71, v138, v132, 0x7060302
	ds_swizzle_b32 v90, v85 offset:50688
	s_waitcnt lgkmcnt(7)
	v_mov_b32_dpp v85, v73 quad_perm:[0,1,2,3] row_mask:0x5 bank_mask:0xf
	ds_swizzle_b32 v73, v89 offset:50688
	s_waitcnt lgkmcnt(7)
	v_mov_b32_dpp v89, v75 quad_perm:[0,1,2,3] row_mask:0x5 bank_mask:0xf
	;; [unrolled: 3-line block ×3, first 2 shown]
	s_waitcnt vmcnt(18)
	v_perm_b32 v78, v140, v139, 0x5040100
	v_perm_b32 v91, v140, v139, 0x7060302
	v_cvt_f32_f16_e32 v92, v83
	v_lshrrev_b32_e32 v83, 16, v83
	v_cvt_f32_f16_e32 v97, v71
	ds_swizzle_b32 v94, v78 offset:50688
	s_waitcnt lgkmcnt(7)
	v_mov_b32_dpp v78, v80 quad_perm:[0,1,2,3] row_mask:0x5 bank_mask:0xf
	ds_swizzle_b32 v80, v91 offset:50688
	v_lshrrev_b32_e32 v71, 16, v71
	s_waitcnt lgkmcnt(7)
	v_mov_b32_dpp v91, v84 quad_perm:[0,1,2,3] row_mask:0x5 bank_mask:0xf
	v_mul_f32_e32 v92, s3, v92
	s_waitcnt vmcnt(16)
	v_perm_b32 v84, v142, v141, 0x5040100
	v_perm_b32 v95, v142, v141, 0x7060302
	v_cvt_f32_f16_e32 v71, v71
	s_waitcnt lgkmcnt(5)
	v_mov_b32_dpp v88, v68 quad_perm:[0,1,2,3] row_mask:0x5 bank_mask:0xf
	s_waitcnt lgkmcnt(4)
	v_mov_b32_dpp v90, v69 quad_perm:[0,1,2,3] row_mask:0x5 bank_mask:0xf
	ds_swizzle_b32 v98, v84 offset:50688
	v_mov_b32_dpp v84, v86 quad_perm:[0,1,2,3] row_mask:0x5 bank_mask:0xf
	ds_swizzle_b32 v86, v95 offset:50688
	v_mul_f32_e32 v68, s3, v71
	s_waitcnt lgkmcnt(5)
	v_mov_b32_dpp v73, v70 quad_perm:[0,1,2,3] row_mask:0x5 bank_mask:0xf
	v_cvt_f32_f16_e32 v69, v88
	v_lshrrev_b32_e32 v70, 16, v88
	v_cvt_f32_f16_e32 v71, v90
	v_cvt_f32_f16_e32 v83, v83
	s_waitcnt lgkmcnt(4)
	v_mov_b32_dpp v75, v72 quad_perm:[0,1,2,3] row_mask:0x5 bank_mask:0xf
	v_lshrrev_b32_e32 v72, 16, v90
	s_waitcnt lgkmcnt(3)
	v_mov_b32_dpp v94, v76 quad_perm:[0,1,2,3] row_mask:0x5 bank_mask:0xf
	v_mul_f32_e32 v69, s3, v69
	v_cvt_f32_f16_e32 v70, v70
	v_mul_f32_e32 v71, s3, v71
	v_cvt_f32_f16_e32 v76, v73
	ds_swizzle_b32 v87, v82 offset:50688
	v_fma_mixlo_f16 v60, v60, s2, v92
	v_mul_f32_e32 v83, s3, v83
	s_waitcnt lgkmcnt(3)
	v_mov_b32_dpp v80, v79 quad_perm:[0,1,2,3] row_mask:0x5 bank_mask:0xf
	v_cvt_f32_f16_e32 v72, v72
	v_lshrrev_b32_e32 v73, 16, v73
	v_cvt_f32_f16_e32 v79, v75
	v_fma_mixlo_f16 v56, v56, s2, v69
	v_mul_f32_e32 v69, s3, v70
	v_fma_mixlo_f16 v70, v48, s2, v71
	v_mul_f32_e32 v71, s3, v76
	v_fma_mixhi_f16 v60, v61, s2, v83
	v_mul_f32_e32 v48, s3, v72
	v_cvt_f32_f16_e32 v72, v73
	v_mul_f32_e32 v73, s3, v79
	v_fma_mixhi_f16 v56, v57, s2, v69
	v_fma_mixlo_f16 v57, v40, s2, v71
	s_waitcnt lgkmcnt(1)
	v_mov_b32_dpp v86, v82 quad_perm:[0,1,2,3] row_mask:0x5 bank_mask:0xf
	v_cvt_f32_f16_e32 v96, v89
	v_fma_mixlo_f16 v32, v32, s2, v73
	s_waitcnt lgkmcnt(0)
	v_mov_b32_dpp v95, v87 quad_perm:[0,1,2,3] row_mask:0x5 bank_mask:0xf
	v_mov_b32_dpp v98, v81 quad_perm:[0,1,2,3] row_mask:0x5 bank_mask:0xf
	v_cvt_f32_f16_e32 v79, v94
	v_mul_f32_e32 v87, s3, v96
	v_lshrrev_b32_e32 v81, 16, v94
	v_lshrrev_b32_e32 v89, 16, v89
	v_mul_f32_e32 v92, s3, v97
	v_cvt_f32_f16_e32 v93, v85
	v_fma_mixlo_f16 v44, v44, s2, v87
	v_mul_f32_e32 v71, s3, v72
	v_cvt_f32_f16_e32 v89, v89
	v_fma_mixlo_f16 v36, v36, s2, v92
	v_mul_f32_e32 v93, s3, v93
	v_mul_f32_e32 v79, s3, v79
	v_cvt_f32_f16_e32 v81, v81
	v_mul_f32_e32 v61, s3, v89
	v_lshrrev_b32_e32 v85, 16, v85
	v_fma_mixlo_f16 v52, v52, s2, v93
	v_fma_mixlo_f16 v24, v24, s2, v79
	v_fma_mixhi_f16 v70, v49, s2, v48
	v_cvt_f32_f16_e32 v48, v86
	v_cvt_f32_f16_e32 v85, v85
	v_lshrrev_b32_e32 v49, 16, v86
	v_lshrrev_b32_e32 v75, 16, v75
	v_fma_mixhi_f16 v57, v41, s2, v71
	v_fma_mixhi_f16 v44, v45, s2, v61
	v_mul_f32_e32 v85, s3, v85
	v_fma_mixhi_f16 v36, v37, s2, v68
	v_cvt_f32_f16_e32 v75, v75
	ds_swizzle_b32 v61, v57 offset:50688
	v_fma_mixhi_f16 v52, v53, s2, v85
	v_cvt_f32_f16_e32 v53, v84
	v_lshrrev_b32_e32 v84, 16, v84
	v_cvt_f32_f16_e32 v85, v95
	v_mul_f32_e32 v75, s3, v75
	s_waitcnt vmcnt(12)
	v_perm_b32 v76, v143, v146, 0x5040100
	s_waitcnt vmcnt(11)
	v_perm_b32 v40, v144, v147, 0x5040100
	v_perm_b32 v82, v143, v146, 0x7060302
	s_waitcnt vmcnt(10)
	v_perm_b32 v87, v145, v148, 0x5040100
	v_perm_b32 v89, v145, v148, 0x7060302
	ds_swizzle_b32 v83, v76 offset:50688
	ds_swizzle_b32 v73, v40 offset:50688
	ds_swizzle_b32 v69, v82 offset:50688
	ds_swizzle_b32 v92, v87 offset:50688
	ds_swizzle_b32 v93, v89 offset:50688
	v_perm_b32 v72, v144, v147, 0x7060302
	v_mul_f32_e32 v53, s3, v53
	v_cvt_f32_f16_e32 v84, v84
	v_fma_mixhi_f16 v32, v33, s2, v75
	ds_swizzle_b32 v88, v72 offset:50688
	v_fma_mixlo_f16 v12, v12, s2, v53
	v_mul_f32_e32 v53, s3, v84
	s_waitcnt vmcnt(7)
	v_perm_b32 v90, v151, v149, 0x5040100
	v_perm_b32 v94, v151, v149, 0x7060302
	s_waitcnt vmcnt(6)
	v_perm_b32 v97, v152, v150, 0x7060302
	v_fma_mixhi_f16 v12, v13, s2, v53
	ds_swizzle_b32 v96, v90 offset:50688
	s_waitcnt lgkmcnt(6)
	v_mov_b32_dpp v90, v83 quad_perm:[0,1,2,3] row_mask:0x5 bank_mask:0xf
	v_perm_b32 v83, v152, v150, 0x5040100
	ds_swizzle_b32 v99, v94 offset:50688
	s_waitcnt lgkmcnt(5)
	v_mov_b32_dpp v94, v69 quad_perm:[0,1,2,3] row_mask:0x5 bank_mask:0xf
	ds_swizzle_b32 v13, v12 offset:50688
	v_cvt_f32_f16_e32 v69, v90
	ds_swizzle_b32 v100, v83 offset:50688
	v_mov_b32_dpp v83, v73 quad_perm:[0,1,2,3] row_mask:0x5 bank_mask:0xf
	ds_swizzle_b32 v73, v97 offset:50688
	s_waitcnt vmcnt(4)
	v_perm_b32 v101, v65, v153, 0x5040100
	v_lshrrev_b32_e32 v90, 16, v90
	v_mul_f32_e32 v69, s3, v69
	v_perm_b32 v65, v65, v153, 0x7060302
	v_cvt_f32_f16_e32 v106, v83
	ds_swizzle_b32 v104, v101 offset:50688
	v_cvt_f32_f16_e32 v90, v90
	v_lshrrev_b32_e32 v83, 16, v83
	v_fma_mixlo_f16 v62, v62, s2, v69
	s_waitcnt lgkmcnt(8)
	v_mov_b32_dpp v101, v92 quad_perm:[0,1,2,3] row_mask:0x5 bank_mask:0xf
	s_waitcnt lgkmcnt(5)
	v_mov_b32_dpp v96, v76 quad_perm:[0,1,2,3] row_mask:0x5 bank_mask:0xf
	v_mul_f32_e32 v69, s3, v90
	ds_swizzle_b32 v92, v65 offset:50688
	s_waitcnt lgkmcnt(5)
	v_mov_b32_dpp v99, v82 quad_perm:[0,1,2,3] row_mask:0x5 bank_mask:0xf
	v_cvt_f32_f16_e32 v83, v83
	v_lshrrev_b32_e32 v76, 16, v96
	v_fma_mixhi_f16 v62, v63, s2, v69
	v_cvt_f32_f16_e32 v69, v96
	s_waitcnt lgkmcnt(3)
	v_mov_b32_dpp v100, v40 quad_perm:[0,1,2,3] row_mask:0x5 bank_mask:0xf
	v_cvt_f32_f16_e32 v40, v99
	v_lshrrev_b32_e32 v82, 16, v99
	s_waitcnt lgkmcnt(2)
	v_mov_b32_dpp v73, v72 quad_perm:[0,1,2,3] row_mask:0x5 bank_mask:0xf
	s_waitcnt vmcnt(0)
	v_perm_b32 v102, v157, v155, 0x5040100
	v_mul_f32_e32 v63, s3, v83
	v_mul_f32_e32 v69, s3, v69
	v_cvt_f32_f16_e32 v72, v76
	s_waitcnt lgkmcnt(1)
	v_mov_b32_dpp v104, v87 quad_perm:[0,1,2,3] row_mask:0x5 bank_mask:0xf
	v_mul_f32_e32 v40, s3, v40
	v_cvt_f32_f16_e32 v76, v82
	v_cvt_f32_f16_e32 v82, v100
	v_lshrrev_b32_e32 v83, 16, v100
	v_cvt_f32_f16_e32 v87, v73
	v_mov_b32_dpp v65, v93 quad_perm:[0,1,2,3] row_mask:0x5 bank_mask:0xf
	v_perm_b32 v93, v156, v154, 0x5040100
	v_perm_b32 v105, v156, v154, 0x7060302
	ds_swizzle_b32 v90, v102 offset:50688
	v_fma_mixlo_f16 v58, v58, s2, v69
	v_mul_f32_e32 v69, s3, v72
	v_fma_mixlo_f16 v50, v50, s2, v40
	v_mul_f32_e32 v40, s3, v76
	v_mul_f32_e32 v72, s3, v82
	v_cvt_f32_f16_e32 v76, v83
	v_mul_f32_e32 v82, s3, v87
	v_cvt_f32_f16_e32 v83, v104
	ds_swizzle_b32 v109, v93 offset:50688
	ds_swizzle_b32 v110, v105 offset:50688
	v_fma_mixhi_f16 v58, v59, s2, v69
	v_mul_f32_e32 v59, s3, v76
	v_fma_mixlo_f16 v34, v34, s2, v82
	v_dual_mul_f32 v76, s3, v81 :: v_dual_mul_f32 v79, s3, v83
	v_cvt_f32_f16_e32 v81, v78
	v_cvt_f32_f16_e32 v82, v101
	v_perm_b32 v103, v157, v155, 0x7060302
	s_waitcnt lgkmcnt(3)
	v_mov_b32_dpp v92, v89 quad_perm:[0,1,2,3] row_mask:0x5 bank_mask:0xf
	v_fma_mixlo_f16 v26, v26, s2, v79
	v_mul_f32_e32 v79, s3, v81
	v_mul_f32_e32 v81, s3, v82
	v_lshrrev_b32_e32 v82, 16, v101
	v_cvt_f32_f16_e32 v83, v80
	v_mov_b32_dpp v97, v88 quad_perm:[0,1,2,3] row_mask:0x5 bank_mask:0xf
	v_cvt_f32_f16_e32 v88, v94
	v_lshrrev_b32_e32 v94, 16, v94
	ds_swizzle_b32 v108, v103 offset:50688
	v_fma_mixlo_f16 v28, v28, s2, v79
	v_fma_mixlo_f16 v30, v30, s2, v81
	v_cvt_f32_f16_e32 v79, v82
	v_mul_f32_e32 v81, s3, v83
	v_cvt_f32_f16_e32 v82, v92
	v_lshrrev_b32_e32 v83, 16, v92
	v_mul_f32_e32 v88, s3, v88
	v_cvt_f32_f16_e32 v94, v94
	s_waitcnt lgkmcnt(3)
	v_mov_b32_dpp v93, v90 quad_perm:[0,1,2,3] row_mask:0x5 bank_mask:0xf
	v_fma_mixlo_f16 v16, v16, s2, v81
	v_mul_f32_e32 v81, s3, v82
	v_cvt_f32_f16_e32 v82, v83
	v_cvt_f32_f16_e32 v83, v91
	v_lshrrev_b32_e32 v87, 16, v91
	v_fma_mixlo_f16 v54, v54, s2, v88
	v_mul_f32_e32 v88, s3, v94
	s_waitcnt lgkmcnt(2)
	v_mov_b32_dpp v109, v102 quad_perm:[0,1,2,3] row_mask:0x5 bank_mask:0xf
	s_waitcnt lgkmcnt(1)
	v_mov_b32_dpp v110, v103 quad_perm:[0,1,2,3] row_mask:0x5 bank_mask:0xf
	v_fma_mixlo_f16 v18, v18, s2, v81
	v_dual_mul_f32 v81, s3, v82 :: v_dual_mul_f32 v82, s3, v83
	v_cvt_f32_f16_e32 v83, v87
	v_cvt_f32_f16_e32 v87, v65
	;; [unrolled: 1-line block ×3, first 2 shown]
	v_fma_mixhi_f16 v50, v51, s2, v40
	v_cvt_f32_f16_e32 v40, v93
	v_lshrrev_b32_e32 v65, 16, v65
	v_fma_mixlo_f16 v20, v20, s2, v82
	v_mul_f32_e32 v82, s3, v83
	v_mul_f32_e32 v83, s3, v87
	;; [unrolled: 1-line block ×3, first 2 shown]
	v_fma_mixhi_f16 v54, v55, s2, v88
	v_cvt_f32_f16_e32 v55, v109
	v_mul_f32_e32 v40, s3, v40
	v_cvt_f32_f16_e32 v84, v110
	s_waitcnt lgkmcnt(0)
	v_mov_b32_dpp v105, v108 quad_perm:[0,1,2,3] row_mask:0x5 bank_mask:0xf
	v_cvt_f32_f16_e32 v65, v65
	v_fma_mixlo_f16 v8, v8, s2, v87
	v_mul_f32_e32 v55, s3, v55
	v_lshrrev_b32_e32 v87, 16, v109
	v_fma_mixlo_f16 v14, v14, s2, v40
	v_mul_f32_e32 v40, s3, v48
	v_cvt_f32_f16_e32 v48, v49
	v_mul_f32_e32 v49, s3, v84
	v_mul_f32_e32 v65, s3, v65
	v_fma_mixlo_f16 v10, v10, s2, v55
	v_cvt_f32_f16_e32 v55, v87
	v_mul_f32_e32 v87, s3, v48
	v_fma_mixlo_f16 v88, v2, s2, v49
	v_mul_f32_e32 v2, s3, v85
	v_cvt_f32_f16_e32 v48, v105
	v_lshrrev_b32_e32 v49, 16, v105
	v_fma_mixlo_f16 v42, v42, s2, v72
	v_lshrrev_b32_e32 v84, 16, v110
	v_fma_mixlo_f16 v4, v4, s2, v2
	v_mul_f32_e32 v2, s3, v48
	v_cvt_f32_f16_e32 v85, v49
	v_mad_u64_u32 v[48:49], null, v74, s15, v[64:65]
	v_fma_mixlo_f16 v86, v0, s2, v40
	v_cvt_f32_f16_e32 v0, v84
	v_lshrrev_b32_e32 v40, 16, v95
	v_mov_b32_e32 v49, v66
	v_fma_mixhi_f16 v42, v43, s2, v59
	v_mul_f32_e32 v94, s3, v106
	v_mul_f32_e32 v84, s3, v0
	v_cvt_f32_f16_e32 v0, v40
	v_lshlrev_b64 v[40:41], 1, v[48:49]
	v_fma_mixlo_f16 v49, v6, s2, v2
	ds_swizzle_b32 v6, v42 offset:50688
	v_lshrrev_b32_e32 v80, 16, v80
	v_lshrrev_b32_e32 v89, 16, v98
	v_fma_mixlo_f16 v46, v46, s2, v94
	v_lshrrev_b32_e32 v72, 16, v104
	v_lshrrev_b32_e32 v78, 16, v78
	v_cvt_f32_f16_e32 v80, v80
	v_fma_mixlo_f16 v22, v22, s2, v83
	v_cvt_f32_f16_e32 v83, v89
	v_lshrrev_b32_e32 v51, 16, v93
	v_fma_mixhi_f16 v46, v47, s2, v63
	v_cvt_f32_f16_e32 v72, v72
	v_cvt_f32_f16_e32 v78, v78
	v_dual_mul_f32 v80, s3, v80 :: v_dual_mul_f32 v83, s3, v83
	v_cvt_f32_f16_e32 v51, v51
	v_mul_f32_e32 v48, s3, v0
	ds_swizzle_b32 v59, v46 offset:50688
	v_lshrrev_b32_e32 v73, 16, v73
	v_mul_f32_e32 v72, s3, v72
	s_waitcnt lgkmcnt(1)
	v_mov_b32_dpp v46, v6 quad_perm:[0,1,2,3] row_mask:0x5 bank_mask:0xf
	ds_swizzle_b32 v6, v32 offset:50688
	v_dual_mul_f32 v78, s3, v78 :: v_dual_mul_f32 v79, s3, v79
	v_mul_f32_e32 v55, s3, v55
	v_mul_f32_e32 v51, s3, v51
	;; [unrolled: 1-line block ×3, first 2 shown]
	v_fma_mixhi_f16 v24, v25, s2, v76
	v_fma_mixhi_f16 v16, v17, s2, v80
	;; [unrolled: 1-line block ×5, first 2 shown]
	v_cvt_f32_f16_e32 v73, v73
	v_fma_mixhi_f16 v26, v27, s2, v72
	v_fma_mixhi_f16 v28, v29, s2, v78
	;; [unrolled: 1-line block ×3, first 2 shown]
	ds_swizzle_b32 v27, v24 offset:50688
	v_fma_mixhi_f16 v18, v19, s2, v81
	v_fma_mixhi_f16 v22, v23, s2, v65
	ds_swizzle_b32 v19, v16 offset:50688
	v_fma_mixhi_f16 v14, v15, s2, v51
	v_fma_mixhi_f16 v10, v11, s2, v55
	;; [unrolled: 3-line block ×3, first 2 shown]
	ds_swizzle_b32 v3, v4 offset:50688
	ds_swizzle_b32 v7, v86 offset:50688
	v_mul_f32_e32 v69, s3, v73
	ds_swizzle_b32 v31, v28 offset:50688
	ds_swizzle_b32 v17, v30 offset:50688
	;; [unrolled: 1-line block ×5, first 2 shown]
	v_fma_mixhi_f16 v34, v35, s2, v69
	ds_swizzle_b32 v35, v36 offset:50688
	v_fma_mixhi_f16 v20, v21, s2, v82
	ds_swizzle_b32 v21, v18 offset:50688
	s_waitcnt lgkmcnt(12)
	v_mov_b32_dpp v36, v6 quad_perm:[0,1,2,3] row_mask:0x5 bank_mask:0xf
	v_mul_lo_u32 v6, v67, s15
	ds_swizzle_b32 v89, v60 offset:50688
	ds_swizzle_b32 v92, v52 offset:50688
	;; [unrolled: 1-line block ×4, first 2 shown]
	s_waitcnt lgkmcnt(15)
	v_mov_b32_dpp v28, v27 quad_perm:[0,1,2,3] row_mask:0x5 bank_mask:0xf
	s_waitcnt lgkmcnt(14)
	v_mov_b32_dpp v20, v19 quad_perm:[0,1,2,3] row_mask:0x5 bank_mask:0xf
	v_mov_b32_dpp v13, v8 quad_perm:[0,1,2,3] row_mask:0x5 bank_mask:0xf
	s_waitcnt lgkmcnt(13)
	v_mov_b32_dpp v12, v11 quad_perm:[0,1,2,3] row_mask:0x5 bank_mask:0xf
	s_waitcnt lgkmcnt(12)
	;; [unrolled: 2-line block ×3, first 2 shown]
	v_mov_b32_dpp v4, v7 quad_perm:[0,1,2,3] row_mask:0x5 bank_mask:0xf
	v_or_b32_e32 v65, v6, v77
	ds_swizzle_b32 v1, v10 offset:50688
	ds_swizzle_b32 v37, v88 offset:50688
	v_mov_b32_dpp v44, v61 quad_perm:[0,1,2,3] row_mask:0x5 bank_mask:0xf
	ds_swizzle_b32 v29, v26 offset:50688
	s_waitcnt lgkmcnt(13)
	v_mov_b32_dpp v31, v24 quad_perm:[0,1,2,3] row_mask:0x5 bank_mask:0xf
	s_waitcnt lgkmcnt(12)
	v_mov_b32_dpp v17, v26 quad_perm:[0,1,2,3] row_mask:0x5 bank_mask:0xf
	;; [unrolled: 2-line block ×5, first 2 shown]
	v_perm_b32 v18, v3, v13, 0x5040100
	v_perm_b32 v24, v20, v28, 0x5040100
	;; [unrolled: 1-line block ×6, first 2 shown]
	v_lshlrev_b64 v[3:4], 1, v[65:66]
	v_add3_u32 v65, v6, s15, v77
	v_add_co_u32 v0, vcc_lo, s10, v40
	s_waitcnt lgkmcnt(8)
	v_mov_b32_dpp v35, v32 quad_perm:[0,1,2,3] row_mask:0x5 bank_mask:0xf
	s_waitcnt lgkmcnt(7)
	v_mov_b32_dpp v22, v21 quad_perm:[0,1,2,3] row_mask:0x5 bank_mask:0xf
	v_perm_b32 v21, v36, v44, 0x5040100
	v_perm_b32 v32, v36, v44, 0x7060302
	;; [unrolled: 1-line block ×4, first 2 shown]
	v_lshlrev_b64 v[5:6], 1, v[65:66]
	v_add_nc_u32_e32 v65, s15, v65
	v_add_co_ci_u32_e32 v2, vcc_lo, s11, v41, vcc_lo
	v_add_co_u32 v3, vcc_lo, v0, v3
	s_delay_alu instid0(VALU_DEP_3)
	v_lshlrev_b64 v[7:8], 1, v[65:66]
	s_waitcnt lgkmcnt(6)
	v_mov_b32_dpp v89, v56 quad_perm:[0,1,2,3] row_mask:0x5 bank_mask:0xf
	s_waitcnt lgkmcnt(5)
	v_mov_b32_dpp v92, v70 quad_perm:[0,1,2,3] row_mask:0x5 bank_mask:0xf
	v_add_nc_u32_e32 v65, s15, v65
	ds_swizzle_b32 v64, v56 offset:50688
	ds_swizzle_b32 v91, v70 offset:50688
	s_waitcnt lgkmcnt(6)
	v_mov_b32_dpp v43, v57 quad_perm:[0,1,2,3] row_mask:0x5 bank_mask:0xf
	v_add_co_ci_u32_e32 v4, vcc_lo, v2, v4, vcc_lo
	s_waitcnt lgkmcnt(5)
	v_mov_b32_dpp v23, v16 quad_perm:[0,1,2,3] row_mask:0x5 bank_mask:0xf
	v_add_co_u32 v5, vcc_lo, v0, v5
	v_add_co_ci_u32_e32 v6, vcc_lo, v2, v6, vcc_lo
	s_waitcnt lgkmcnt(4)
	v_mov_b32_dpp v14, v1 quad_perm:[0,1,2,3] row_mask:0x5 bank_mask:0xf
	s_waitcnt lgkmcnt(3)
	v_mov_b32_dpp v49, v37 quad_perm:[0,1,2,3] row_mask:0x5 bank_mask:0xf
	v_perm_b32 v1, v92, v89, 0x5040100
	v_perm_b32 v37, v9, v17, 0x5040100
	;; [unrolled: 1-line block ×3, first 2 shown]
	v_add_co_u32 v7, vcc_lo, v0, v7
	v_lshlrev_b64 v[9:10], 1, v[65:66]
	v_add_nc_u32_e32 v65, s15, v65
	v_perm_b32 v11, v35, v43, 0x5040100
	v_perm_b32 v16, v23, v31, 0x5040100
	v_add_co_ci_u32_e32 v8, vcc_lo, v2, v8, vcc_lo
	s_clause 0x2
	global_store_b32 v[3:4], v1, off
	global_store_b32 v[5:6], v11, off
	;; [unrolled: 1-line block ×3, first 2 shown]
	v_lshlrev_b64 v[3:4], 1, v[65:66]
	v_add_nc_u32_e32 v65, s15, v65
	v_add_co_u32 v5, vcc_lo, v0, v9
	v_add_co_ci_u32_e32 v6, vcc_lo, v2, v10, vcc_lo
	s_delay_alu instid0(VALU_DEP_3)
	v_lshlrev_b64 v[7:8], 1, v[65:66]
	v_add_nc_u32_e32 v65, s15, v65
	v_add_co_u32 v3, vcc_lo, v0, v3
	s_waitcnt lgkmcnt(1)
	v_mov_b32_dpp v60, v64 quad_perm:[0,1,2,3] row_mask:0x5 bank_mask:0xf
	s_waitcnt lgkmcnt(0)
	v_mov_b32_dpp v52, v91 quad_perm:[0,1,2,3] row_mask:0x5 bank_mask:0xf
	v_lshlrev_b64 v[9:10], 1, v[65:66]
	v_add_nc_u32_e32 v65, s15, v65
	v_add_co_ci_u32_e32 v4, vcc_lo, v2, v4, vcc_lo
	v_add_co_u32 v7, vcc_lo, v0, v7
	v_add_co_ci_u32_e32 v8, vcc_lo, v2, v8, vcc_lo
	s_delay_alu instid0(VALU_DEP_4)
	v_lshlrev_b64 v[11:12], 1, v[65:66]
	v_add_nc_u32_e32 v65, s15, v65
	v_perm_b32 v19, v52, v60, 0x5040100
	v_add_co_u32 v9, vcc_lo, v0, v9
	v_add_co_ci_u32_e32 v10, vcc_lo, v2, v10, vcc_lo
	s_clause 0x3
	global_store_b32 v[5:6], v18, off
	global_store_b32 v[3:4], v19, off
	global_store_b32 v[7:8], v21, off
	global_store_b32 v[9:10], v24, off
	v_lshlrev_b64 v[3:4], 1, v[65:66]
	v_add_nc_u32_e32 v65, s15, v65
	v_add_co_u32 v5, vcc_lo, v0, v11
	v_add_co_ci_u32_e32 v6, vcc_lo, v2, v12, vcc_lo
	s_delay_alu instid0(VALU_DEP_3) | instskip(SKIP_4) | instid1(VALU_DEP_4)
	v_lshlrev_b64 v[7:8], 1, v[65:66]
	v_add_nc_u32_e32 v65, s15, v65
	v_add_co_u32 v3, vcc_lo, v0, v3
	v_cvt_f32_f16_e32 v107, v97
	v_lshrrev_b32_e32 v97, 16, v97
	v_lshlrev_b64 v[9:10], 1, v[65:66]
	v_add_nc_u32_e32 v65, s15, v65
	v_add_co_ci_u32_e32 v4, vcc_lo, v2, v4, vcc_lo
	v_add_co_u32 v7, vcc_lo, v0, v7
	v_add_co_ci_u32_e32 v8, vcc_lo, v2, v8, vcc_lo
	s_delay_alu instid0(VALU_DEP_4)
	v_lshlrev_b64 v[11:12], 1, v[65:66]
	v_add_nc_u32_e32 v65, s15, v65
	v_perm_b32 v27, v92, v89, 0x7060302
	v_add_co_u32 v9, vcc_lo, v0, v9
	v_mul_f32_e32 v106, s3, v107
	v_cvt_f32_f16_e32 v97, v97
	v_mov_b32_dpp v30, v29 quad_perm:[0,1,2,3] row_mask:0x5 bank_mask:0xf
	v_perm_b32 v29, v35, v43, 0x7060302
	v_perm_b32 v23, v23, v31, 0x7060302
	v_add_co_ci_u32_e32 v10, vcc_lo, v2, v10, vcc_lo
	s_clause 0x3
	global_store_b32 v[5:6], v26, off
	global_store_b32 v[3:4], v27, off
	;; [unrolled: 1-line block ×4, first 2 shown]
	v_lshlrev_b64 v[3:4], 1, v[65:66]
	v_add_nc_u32_e32 v65, s15, v65
	v_fma_mixlo_f16 v38, v38, s2, v106
	v_mul_f32_e32 v73, s3, v97
	v_add_co_u32 v5, vcc_lo, v0, v11
	s_delay_alu instid0(VALU_DEP_4) | instskip(SKIP_1) | instid1(VALU_DEP_4)
	v_lshlrev_b64 v[7:8], 1, v[65:66]
	v_add_nc_u32_e32 v65, s15, v65
	v_fma_mixhi_f16 v38, v39, s2, v73
	v_add_co_ci_u32_e32 v6, vcc_lo, v2, v12, vcc_lo
	v_add_co_u32 v3, vcc_lo, v0, v3
	s_delay_alu instid0(VALU_DEP_4)
	v_lshlrev_b64 v[9:10], 1, v[65:66]
	v_add_nc_u32_e32 v65, s15, v65
	ds_swizzle_b32 v90, v62 offset:50688
	ds_swizzle_b32 v45, v54 offset:50688
	;; [unrolled: 1-line block ×3, first 2 shown]
	v_add_co_ci_u32_e32 v4, vcc_lo, v2, v4, vcc_lo
	v_add_co_u32 v7, vcc_lo, v0, v7
	v_add_co_ci_u32_e32 v8, vcc_lo, v2, v8, vcc_lo
	v_lshlrev_b64 v[11:12], 1, v[65:66]
	v_add_nc_u32_e32 v65, s15, v65
	v_perm_b32 v31, v52, v60, 0x7060302
	v_add_co_u32 v9, vcc_lo, v0, v9
	v_add_co_ci_u32_e32 v10, vcc_lo, v2, v10, vcc_lo
	s_clause 0x3
	global_store_b32 v[5:6], v13, off
	global_store_b32 v[3:4], v31, off
	;; [unrolled: 1-line block ×4, first 2 shown]
	v_lshlrev_b64 v[3:4], 1, v[65:66]
	v_add_nc_u32_e32 v65, s15, v65
	v_add_co_u32 v5, vcc_lo, v0, v11
	v_add_co_ci_u32_e32 v6, vcc_lo, v2, v12, vcc_lo
	s_delay_alu instid0(VALU_DEP_3)
	v_lshlrev_b64 v[7:8], 1, v[65:66]
	v_add_nc_u32_e32 v65, s15, v65
	v_add_co_u32 v3, vcc_lo, v0, v3
	ds_swizzle_b32 v74, v58 offset:50688
	ds_swizzle_b32 v47, v50 offset:50688
	v_lshlrev_b64 v[9:10], 1, v[65:66]
	v_add_nc_u32_e32 v65, s15, v65
	s_waitcnt lgkmcnt(4)
	v_mov_b32_dpp v90, v58 quad_perm:[0,1,2,3] row_mask:0x5 bank_mask:0xf
	s_waitcnt lgkmcnt(3)
	v_mov_b32_dpp v45, v50 quad_perm:[0,1,2,3] row_mask:0x5 bank_mask:0xf
	v_mov_b32_dpp v59, v42 quad_perm:[0,1,2,3] row_mask:0x5 bank_mask:0xf
	ds_swizzle_b32 v33, v34 offset:50688
	s_waitcnt lgkmcnt(3)
	v_mov_b32_dpp v25, v34 quad_perm:[0,1,2,3] row_mask:0x5 bank_mask:0xf
	v_add_co_ci_u32_e32 v4, vcc_lo, v2, v4, vcc_lo
	v_add_co_u32 v7, vcc_lo, v0, v7
	v_add_co_ci_u32_e32 v8, vcc_lo, v2, v8, vcc_lo
	v_lshlrev_b64 v[11:12], 1, v[65:66]
	v_add_nc_u32_e32 v65, s15, v65
	v_perm_b32 v40, v45, v90, 0x5040100
	v_add_co_u32 v9, vcc_lo, v0, v9
	v_perm_b32 v39, v25, v59, 0x5040100
	v_add_co_ci_u32_e32 v10, vcc_lo, v2, v10, vcc_lo
	s_clause 0x3
	global_store_b32 v[5:6], v28, off
	global_store_b32 v[3:4], v40, off
	;; [unrolled: 1-line block ×4, first 2 shown]
	v_lshlrev_b64 v[3:4], 1, v[65:66]
	v_add_nc_u32_e32 v65, s15, v65
	v_add_co_u32 v5, vcc_lo, v0, v11
	v_add_co_ci_u32_e32 v6, vcc_lo, v2, v12, vcc_lo
	s_delay_alu instid0(VALU_DEP_3)
	v_lshlrev_b64 v[7:8], 1, v[65:66]
	v_add_nc_u32_e32 v65, s15, v65
	v_add_co_u32 v3, vcc_lo, v0, v3
	s_waitcnt lgkmcnt(2)
	v_mov_b32_dpp v62, v74 quad_perm:[0,1,2,3] row_mask:0x5 bank_mask:0xf
	s_waitcnt lgkmcnt(1)
	v_mov_b32_dpp v54, v47 quad_perm:[0,1,2,3] row_mask:0x5 bank_mask:0xf
	v_lshlrev_b64 v[9:10], 1, v[65:66]
	v_add_nc_u32_e32 v65, s15, v65
	s_waitcnt lgkmcnt(0)
	v_mov_b32_dpp v38, v33 quad_perm:[0,1,2,3] row_mask:0x5 bank_mask:0xf
	v_add_co_ci_u32_e32 v4, vcc_lo, v2, v4, vcc_lo
	v_add_co_u32 v7, vcc_lo, v0, v7
	v_add_co_ci_u32_e32 v8, vcc_lo, v2, v8, vcc_lo
	v_lshlrev_b64 v[11:12], 1, v[65:66]
	v_add_nc_u32_e32 v65, s15, v65
	v_perm_b32 v35, v54, v62, 0x5040100
	v_add_co_u32 v9, vcc_lo, v0, v9
	v_perm_b32 v34, v38, v46, 0x5040100
	v_perm_b32 v33, v22, v30, 0x5040100
	v_add_co_ci_u32_e32 v10, vcc_lo, v2, v10, vcc_lo
	s_clause 0x3
	global_store_b32 v[5:6], v36, off
	global_store_b32 v[3:4], v35, off
	;; [unrolled: 1-line block ×4, first 2 shown]
	v_lshlrev_b64 v[3:4], 1, v[65:66]
	v_add_nc_u32_e32 v65, s15, v65
	v_add_co_u32 v5, vcc_lo, v0, v11
	v_add_co_ci_u32_e32 v6, vcc_lo, v2, v12, vcc_lo
	s_delay_alu instid0(VALU_DEP_3) | instskip(SKIP_3) | instid1(VALU_DEP_3)
	v_lshlrev_b64 v[7:8], 1, v[65:66]
	v_add_nc_u32_e32 v65, s15, v65
	v_add_co_u32 v3, vcc_lo, v0, v3
	v_add_co_ci_u32_e32 v4, vcc_lo, v2, v4, vcc_lo
	v_lshlrev_b64 v[9:10], 1, v[65:66]
	v_add_nc_u32_e32 v65, s15, v65
	v_add_co_u32 v7, vcc_lo, v0, v7
	v_perm_b32 v41, v49, v14, 0x5040100
	v_add_co_ci_u32_e32 v8, vcc_lo, v2, v8, vcc_lo
	s_delay_alu instid0(VALU_DEP_4)
	v_lshlrev_b64 v[11:12], 1, v[65:66]
	v_add_nc_u32_e32 v65, s15, v65
	v_perm_b32 v42, v45, v90, 0x7060302
	v_add_co_u32 v9, vcc_lo, v0, v9
	v_perm_b32 v25, v25, v59, 0x7060302
	v_add_co_ci_u32_e32 v10, vcc_lo, v2, v10, vcc_lo
	s_clause 0x3
	global_store_b32 v[5:6], v41, off
	global_store_b32 v[3:4], v42, off
	;; [unrolled: 1-line block ×4, first 2 shown]
	v_lshlrev_b64 v[3:4], 1, v[65:66]
	v_add_nc_u32_e32 v65, s15, v65
	v_add_co_u32 v5, vcc_lo, v0, v11
	v_add_co_ci_u32_e32 v6, vcc_lo, v2, v12, vcc_lo
	s_delay_alu instid0(VALU_DEP_3) | instskip(SKIP_3) | instid1(VALU_DEP_3)
	v_lshlrev_b64 v[7:8], 1, v[65:66]
	v_add_nc_u32_e32 v65, s15, v65
	v_add_co_u32 v3, vcc_lo, v0, v3
	v_add_co_ci_u32_e32 v4, vcc_lo, v2, v4, vcc_lo
	v_lshlrev_b64 v[9:10], 1, v[65:66]
	v_add_nc_u32_e32 v65, s15, v65
	v_add_co_u32 v7, vcc_lo, v0, v7
	v_add_co_ci_u32_e32 v8, vcc_lo, v2, v8, vcc_lo
	s_delay_alu instid0(VALU_DEP_3)
	v_lshlrev_b64 v[11:12], 1, v[65:66]
	v_add_co_u32 v9, vcc_lo, v0, v9
	v_perm_b32 v43, v54, v62, 0x7060302
	v_add_co_ci_u32_e32 v10, vcc_lo, v2, v10, vcc_lo
	v_perm_b32 v38, v38, v46, 0x7060302
	v_add_co_u32 v0, vcc_lo, v0, v11
	v_perm_b32 v22, v22, v30, 0x7060302
	v_perm_b32 v14, v49, v14, 0x7060302
	v_add_co_ci_u32_e32 v1, vcc_lo, v2, v12, vcc_lo
	s_clause 0x4
	global_store_b32 v[5:6], v15, off
	global_store_b32 v[3:4], v43, off
	;; [unrolled: 1-line block ×5, first 2 shown]
.LBB0_9:
	s_nop 0
	s_sendmsg sendmsg(MSG_DEALLOC_VGPRS)
	s_endpgm
	.section	.rodata,"a",@progbits
	.p2align	6, 0x0
	.amdhsa_kernel _Z14gemm_rocwmma_djjjPKDF16_S0_S0_PDF16_jjjjff
		.amdhsa_group_segment_fixed_size 0
		.amdhsa_private_segment_fixed_size 0
		.amdhsa_kernarg_size 72
		.amdhsa_user_sgpr_count 14
		.amdhsa_user_sgpr_dispatch_ptr 0
		.amdhsa_user_sgpr_queue_ptr 0
		.amdhsa_user_sgpr_kernarg_segment_ptr 1
		.amdhsa_user_sgpr_dispatch_id 0
		.amdhsa_user_sgpr_private_segment_size 0
		.amdhsa_wavefront_size32 1
		.amdhsa_uses_dynamic_stack 0
		.amdhsa_enable_private_segment 0
		.amdhsa_system_sgpr_workgroup_id_x 1
		.amdhsa_system_sgpr_workgroup_id_y 1
		.amdhsa_system_sgpr_workgroup_id_z 0
		.amdhsa_system_sgpr_workgroup_info 0
		.amdhsa_system_vgpr_workitem_id 1
		.amdhsa_next_free_vgpr 165
		.amdhsa_next_free_sgpr 26
		.amdhsa_reserve_vcc 1
		.amdhsa_float_round_mode_32 0
		.amdhsa_float_round_mode_16_64 0
		.amdhsa_float_denorm_mode_32 3
		.amdhsa_float_denorm_mode_16_64 3
		.amdhsa_dx10_clamp 1
		.amdhsa_ieee_mode 1
		.amdhsa_fp16_overflow 0
		.amdhsa_workgroup_processor_mode 1
		.amdhsa_memory_ordered 1
		.amdhsa_forward_progress 0
		.amdhsa_shared_vgpr_count 0
		.amdhsa_exception_fp_ieee_invalid_op 0
		.amdhsa_exception_fp_denorm_src 0
		.amdhsa_exception_fp_ieee_div_zero 0
		.amdhsa_exception_fp_ieee_overflow 0
		.amdhsa_exception_fp_ieee_underflow 0
		.amdhsa_exception_fp_ieee_inexact 0
		.amdhsa_exception_int_div_zero 0
	.end_amdhsa_kernel
	.text
.Lfunc_end0:
	.size	_Z14gemm_rocwmma_djjjPKDF16_S0_S0_PDF16_jjjjff, .Lfunc_end0-_Z14gemm_rocwmma_djjjPKDF16_S0_S0_PDF16_jjjjff
                                        ; -- End function
	.section	.AMDGPU.csdata,"",@progbits
; Kernel info:
; codeLenInByte = 8856
; NumSgprs: 28
; NumVgprs: 165
; ScratchSize: 0
; MemoryBound: 0
; FloatMode: 240
; IeeeMode: 1
; LDSByteSize: 0 bytes/workgroup (compile time only)
; SGPRBlocks: 3
; VGPRBlocks: 20
; NumSGPRsForWavesPerEU: 28
; NumVGPRsForWavesPerEU: 165
; Occupancy: 9
; WaveLimiterHint : 0
; COMPUTE_PGM_RSRC2:SCRATCH_EN: 0
; COMPUTE_PGM_RSRC2:USER_SGPR: 14
; COMPUTE_PGM_RSRC2:TRAP_HANDLER: 0
; COMPUTE_PGM_RSRC2:TGID_X_EN: 1
; COMPUTE_PGM_RSRC2:TGID_Y_EN: 1
; COMPUTE_PGM_RSRC2:TGID_Z_EN: 0
; COMPUTE_PGM_RSRC2:TIDIG_COMP_CNT: 1
	.text
	.p2alignl 7, 3214868480
	.fill 96, 4, 3214868480
	.type	__hip_cuid_49a51ff49f6a4cac,@object ; @__hip_cuid_49a51ff49f6a4cac
	.section	.bss,"aw",@nobits
	.globl	__hip_cuid_49a51ff49f6a4cac
__hip_cuid_49a51ff49f6a4cac:
	.byte	0                               ; 0x0
	.size	__hip_cuid_49a51ff49f6a4cac, 1

	.ident	"AMD clang version 19.0.0git (https://github.com/RadeonOpenCompute/llvm-project roc-6.4.0 25133 c7fe45cf4b819c5991fe208aaa96edf142730f1d)"
	.section	".note.GNU-stack","",@progbits
	.addrsig
	.addrsig_sym __hip_cuid_49a51ff49f6a4cac
	.amdgpu_metadata
---
amdhsa.kernels:
  - .args:
      - .offset:         0
        .size:           4
        .value_kind:     by_value
      - .offset:         4
        .size:           4
        .value_kind:     by_value
      - .offset:         8
        .size:           4
        .value_kind:     by_value
      - .address_space:  global
        .offset:         16
        .size:           8
        .value_kind:     global_buffer
      - .address_space:  global
        .offset:         24
        .size:           8
        .value_kind:     global_buffer
      - .address_space:  global
        .offset:         32
        .size:           8
        .value_kind:     global_buffer
      - .address_space:  global
        .offset:         40
        .size:           8
        .value_kind:     global_buffer
      - .offset:         48
        .size:           4
        .value_kind:     by_value
      - .offset:         52
        .size:           4
        .value_kind:     by_value
      - .offset:         56
        .size:           4
        .value_kind:     by_value
      - .offset:         60
        .size:           4
        .value_kind:     by_value
      - .offset:         64
        .size:           4
        .value_kind:     by_value
      - .offset:         68
        .size:           4
        .value_kind:     by_value
    .group_segment_fixed_size: 0
    .kernarg_segment_align: 8
    .kernarg_segment_size: 72
    .language:       OpenCL C
    .language_version:
      - 2
      - 0
    .max_flat_workgroup_size: 256
    .name:           _Z14gemm_rocwmma_djjjPKDF16_S0_S0_PDF16_jjjjff
    .private_segment_fixed_size: 0
    .sgpr_count:     28
    .sgpr_spill_count: 0
    .symbol:         _Z14gemm_rocwmma_djjjPKDF16_S0_S0_PDF16_jjjjff.kd
    .uniform_work_group_size: 1
    .uses_dynamic_stack: false
    .vgpr_count:     165
    .vgpr_spill_count: 0
    .wavefront_size: 32
    .workgroup_processor_mode: 1
amdhsa.target:   amdgcn-amd-amdhsa--gfx1100
amdhsa.version:
  - 1
  - 2
...

	.end_amdgpu_metadata
